;; amdgpu-corpus repo=ROCm/rocFFT kind=compiled arch=gfx1201 opt=O3
	.text
	.amdgcn_target "amdgcn-amd-amdhsa--gfx1201"
	.amdhsa_code_object_version 6
	.protected	fft_rtc_back_len1664_factors_13_2_2_4_2_2_2_wgs_208_tpt_208_halfLds_half_op_CI_CI_unitstride_sbrr_dirReg ; -- Begin function fft_rtc_back_len1664_factors_13_2_2_4_2_2_2_wgs_208_tpt_208_halfLds_half_op_CI_CI_unitstride_sbrr_dirReg
	.globl	fft_rtc_back_len1664_factors_13_2_2_4_2_2_2_wgs_208_tpt_208_halfLds_half_op_CI_CI_unitstride_sbrr_dirReg
	.p2align	8
	.type	fft_rtc_back_len1664_factors_13_2_2_4_2_2_2_wgs_208_tpt_208_halfLds_half_op_CI_CI_unitstride_sbrr_dirReg,@function
fft_rtc_back_len1664_factors_13_2_2_4_2_2_2_wgs_208_tpt_208_halfLds_half_op_CI_CI_unitstride_sbrr_dirReg: ; @fft_rtc_back_len1664_factors_13_2_2_4_2_2_2_wgs_208_tpt_208_halfLds_half_op_CI_CI_unitstride_sbrr_dirReg
; %bb.0:
	s_clause 0x2
	s_load_b128 s[8:11], s[0:1], 0x0
	s_load_b128 s[4:7], s[0:1], 0x58
	;; [unrolled: 1-line block ×3, first 2 shown]
	v_mul_u32_u24_e32 v1, 0x13c, v0
	v_mov_b32_e32 v5, 0
	v_mov_b32_e32 v7, 0
	;; [unrolled: 1-line block ×3, first 2 shown]
	s_delay_alu instid0(VALU_DEP_4) | instskip(NEXT) | instid1(VALU_DEP_1)
	v_lshrrev_b32_e32 v1, 16, v1
	v_dual_mov_b32 v10, v5 :: v_dual_add_nc_u32 v9, ttmp9, v1
	s_wait_kmcnt 0x0
	v_cmp_lt_u64_e64 s2, s[10:11], 2
	s_delay_alu instid0(VALU_DEP_1)
	s_and_b32 vcc_lo, exec_lo, s2
	s_cbranch_vccnz .LBB0_8
; %bb.1:
	s_load_b64 s[2:3], s[0:1], 0x10
	v_mov_b32_e32 v7, 0
	v_mov_b32_e32 v8, 0
	s_delay_alu instid0(VALU_DEP_2)
	v_mov_b32_e32 v1, v7
	s_add_nc_u64 s[16:17], s[14:15], 8
	s_add_nc_u64 s[18:19], s[12:13], 8
	s_mov_b64 s[20:21], 1
	v_mov_b32_e32 v2, v8
	s_wait_kmcnt 0x0
	s_add_nc_u64 s[22:23], s[2:3], 8
	s_mov_b32 s3, 0
.LBB0_2:                                ; =>This Inner Loop Header: Depth=1
	s_load_b64 s[24:25], s[22:23], 0x0
                                        ; implicit-def: $vgpr3_vgpr4
	s_mov_b32 s2, exec_lo
	s_wait_kmcnt 0x0
	v_or_b32_e32 v6, s25, v10
	s_delay_alu instid0(VALU_DEP_1)
	v_cmpx_ne_u64_e32 0, v[5:6]
	s_wait_alu 0xfffe
	s_xor_b32 s26, exec_lo, s2
	s_cbranch_execz .LBB0_4
; %bb.3:                                ;   in Loop: Header=BB0_2 Depth=1
	s_cvt_f32_u32 s2, s24
	s_cvt_f32_u32 s27, s25
	s_sub_nc_u64 s[30:31], 0, s[24:25]
	s_wait_alu 0xfffe
	s_delay_alu instid0(SALU_CYCLE_1) | instskip(SKIP_1) | instid1(SALU_CYCLE_2)
	s_fmamk_f32 s2, s27, 0x4f800000, s2
	s_wait_alu 0xfffe
	v_s_rcp_f32 s2, s2
	s_delay_alu instid0(TRANS32_DEP_1) | instskip(SKIP_1) | instid1(SALU_CYCLE_2)
	s_mul_f32 s2, s2, 0x5f7ffffc
	s_wait_alu 0xfffe
	s_mul_f32 s27, s2, 0x2f800000
	s_wait_alu 0xfffe
	s_delay_alu instid0(SALU_CYCLE_2) | instskip(SKIP_1) | instid1(SALU_CYCLE_2)
	s_trunc_f32 s27, s27
	s_wait_alu 0xfffe
	s_fmamk_f32 s2, s27, 0xcf800000, s2
	s_cvt_u32_f32 s29, s27
	s_wait_alu 0xfffe
	s_delay_alu instid0(SALU_CYCLE_1) | instskip(SKIP_1) | instid1(SALU_CYCLE_2)
	s_cvt_u32_f32 s28, s2
	s_wait_alu 0xfffe
	s_mul_u64 s[34:35], s[30:31], s[28:29]
	s_wait_alu 0xfffe
	s_mul_hi_u32 s37, s28, s35
	s_mul_i32 s36, s28, s35
	s_mul_hi_u32 s2, s28, s34
	s_mul_i32 s33, s29, s34
	s_wait_alu 0xfffe
	s_add_nc_u64 s[36:37], s[2:3], s[36:37]
	s_mul_hi_u32 s27, s29, s34
	s_mul_hi_u32 s38, s29, s35
	s_add_co_u32 s2, s36, s33
	s_wait_alu 0xfffe
	s_add_co_ci_u32 s2, s37, s27
	s_mul_i32 s34, s29, s35
	s_add_co_ci_u32 s35, s38, 0
	s_wait_alu 0xfffe
	s_add_nc_u64 s[34:35], s[2:3], s[34:35]
	s_wait_alu 0xfffe
	v_add_co_u32 v3, s2, s28, s34
	s_delay_alu instid0(VALU_DEP_1) | instskip(SKIP_1) | instid1(VALU_DEP_1)
	s_cmp_lg_u32 s2, 0
	s_add_co_ci_u32 s29, s29, s35
	v_readfirstlane_b32 s28, v3
	s_wait_alu 0xfffe
	s_delay_alu instid0(VALU_DEP_1)
	s_mul_u64 s[30:31], s[30:31], s[28:29]
	s_wait_alu 0xfffe
	s_mul_hi_u32 s35, s28, s31
	s_mul_i32 s34, s28, s31
	s_mul_hi_u32 s2, s28, s30
	s_mul_i32 s33, s29, s30
	s_wait_alu 0xfffe
	s_add_nc_u64 s[34:35], s[2:3], s[34:35]
	s_mul_hi_u32 s27, s29, s30
	s_mul_hi_u32 s28, s29, s31
	s_wait_alu 0xfffe
	s_add_co_u32 s2, s34, s33
	s_add_co_ci_u32 s2, s35, s27
	s_mul_i32 s30, s29, s31
	s_add_co_ci_u32 s31, s28, 0
	s_wait_alu 0xfffe
	s_add_nc_u64 s[30:31], s[2:3], s[30:31]
	s_wait_alu 0xfffe
	v_add_co_u32 v6, s2, v3, s30
	s_delay_alu instid0(VALU_DEP_1) | instskip(SKIP_1) | instid1(VALU_DEP_1)
	s_cmp_lg_u32 s2, 0
	s_add_co_ci_u32 s2, s29, s31
	v_mul_hi_u32 v15, v9, v6
	s_wait_alu 0xfffe
	v_mad_co_u64_u32 v[3:4], null, v9, s2, 0
	v_mad_co_u64_u32 v[11:12], null, v10, v6, 0
	;; [unrolled: 1-line block ×3, first 2 shown]
	s_delay_alu instid0(VALU_DEP_3) | instskip(SKIP_1) | instid1(VALU_DEP_4)
	v_add_co_u32 v3, vcc_lo, v15, v3
	s_wait_alu 0xfffd
	v_add_co_ci_u32_e32 v4, vcc_lo, 0, v4, vcc_lo
	s_delay_alu instid0(VALU_DEP_2) | instskip(SKIP_1) | instid1(VALU_DEP_2)
	v_add_co_u32 v3, vcc_lo, v3, v11
	s_wait_alu 0xfffd
	v_add_co_ci_u32_e32 v3, vcc_lo, v4, v12, vcc_lo
	s_wait_alu 0xfffd
	v_add_co_ci_u32_e32 v4, vcc_lo, 0, v14, vcc_lo
	s_delay_alu instid0(VALU_DEP_2) | instskip(SKIP_1) | instid1(VALU_DEP_2)
	v_add_co_u32 v6, vcc_lo, v3, v13
	s_wait_alu 0xfffd
	v_add_co_ci_u32_e32 v11, vcc_lo, 0, v4, vcc_lo
	s_delay_alu instid0(VALU_DEP_2) | instskip(SKIP_1) | instid1(VALU_DEP_3)
	v_mul_lo_u32 v12, s25, v6
	v_mad_co_u64_u32 v[3:4], null, s24, v6, 0
	v_mul_lo_u32 v13, s24, v11
	s_delay_alu instid0(VALU_DEP_2) | instskip(NEXT) | instid1(VALU_DEP_2)
	v_sub_co_u32 v3, vcc_lo, v9, v3
	v_add3_u32 v4, v4, v13, v12
	s_delay_alu instid0(VALU_DEP_1) | instskip(SKIP_1) | instid1(VALU_DEP_1)
	v_sub_nc_u32_e32 v12, v10, v4
	s_wait_alu 0xfffd
	v_subrev_co_ci_u32_e64 v12, s2, s25, v12, vcc_lo
	v_add_co_u32 v13, s2, v6, 2
	s_wait_alu 0xf1ff
	v_add_co_ci_u32_e64 v14, s2, 0, v11, s2
	v_sub_co_u32 v15, s2, v3, s24
	v_sub_co_ci_u32_e32 v4, vcc_lo, v10, v4, vcc_lo
	s_wait_alu 0xf1ff
	v_subrev_co_ci_u32_e64 v12, s2, 0, v12, s2
	s_delay_alu instid0(VALU_DEP_3) | instskip(NEXT) | instid1(VALU_DEP_3)
	v_cmp_le_u32_e32 vcc_lo, s24, v15
	v_cmp_eq_u32_e64 s2, s25, v4
	s_wait_alu 0xfffd
	v_cndmask_b32_e64 v15, 0, -1, vcc_lo
	v_cmp_le_u32_e32 vcc_lo, s25, v12
	s_wait_alu 0xfffd
	v_cndmask_b32_e64 v16, 0, -1, vcc_lo
	v_cmp_le_u32_e32 vcc_lo, s24, v3
	;; [unrolled: 3-line block ×3, first 2 shown]
	s_wait_alu 0xfffd
	v_cndmask_b32_e64 v17, 0, -1, vcc_lo
	v_cmp_eq_u32_e32 vcc_lo, s25, v12
	s_wait_alu 0xf1ff
	s_delay_alu instid0(VALU_DEP_2)
	v_cndmask_b32_e64 v3, v17, v3, s2
	s_wait_alu 0xfffd
	v_cndmask_b32_e32 v12, v16, v15, vcc_lo
	v_add_co_u32 v15, vcc_lo, v6, 1
	s_wait_alu 0xfffd
	v_add_co_ci_u32_e32 v16, vcc_lo, 0, v11, vcc_lo
	s_delay_alu instid0(VALU_DEP_3) | instskip(SKIP_2) | instid1(VALU_DEP_3)
	v_cmp_ne_u32_e32 vcc_lo, 0, v12
	s_wait_alu 0xfffd
	v_cndmask_b32_e32 v12, v15, v13, vcc_lo
	v_cndmask_b32_e32 v4, v16, v14, vcc_lo
	v_cmp_ne_u32_e32 vcc_lo, 0, v3
	s_wait_alu 0xfffd
	s_delay_alu instid0(VALU_DEP_3) | instskip(NEXT) | instid1(VALU_DEP_3)
	v_cndmask_b32_e32 v3, v6, v12, vcc_lo
	v_cndmask_b32_e32 v4, v11, v4, vcc_lo
.LBB0_4:                                ;   in Loop: Header=BB0_2 Depth=1
	s_wait_alu 0xfffe
	s_and_not1_saveexec_b32 s2, s26
	s_cbranch_execz .LBB0_6
; %bb.5:                                ;   in Loop: Header=BB0_2 Depth=1
	v_cvt_f32_u32_e32 v3, s24
	s_sub_co_i32 s26, 0, s24
	s_delay_alu instid0(VALU_DEP_1) | instskip(NEXT) | instid1(TRANS32_DEP_1)
	v_rcp_iflag_f32_e32 v3, v3
	v_mul_f32_e32 v3, 0x4f7ffffe, v3
	s_delay_alu instid0(VALU_DEP_1) | instskip(SKIP_1) | instid1(VALU_DEP_1)
	v_cvt_u32_f32_e32 v3, v3
	s_wait_alu 0xfffe
	v_mul_lo_u32 v4, s26, v3
	s_delay_alu instid0(VALU_DEP_1) | instskip(NEXT) | instid1(VALU_DEP_1)
	v_mul_hi_u32 v4, v3, v4
	v_add_nc_u32_e32 v3, v3, v4
	s_delay_alu instid0(VALU_DEP_1) | instskip(NEXT) | instid1(VALU_DEP_1)
	v_mul_hi_u32 v3, v9, v3
	v_mul_lo_u32 v4, v3, s24
	v_add_nc_u32_e32 v6, 1, v3
	s_delay_alu instid0(VALU_DEP_2) | instskip(NEXT) | instid1(VALU_DEP_1)
	v_sub_nc_u32_e32 v4, v9, v4
	v_subrev_nc_u32_e32 v11, s24, v4
	v_cmp_le_u32_e32 vcc_lo, s24, v4
	s_wait_alu 0xfffd
	s_delay_alu instid0(VALU_DEP_2) | instskip(NEXT) | instid1(VALU_DEP_1)
	v_dual_cndmask_b32 v4, v4, v11 :: v_dual_cndmask_b32 v3, v3, v6
	v_cmp_le_u32_e32 vcc_lo, s24, v4
	s_delay_alu instid0(VALU_DEP_2) | instskip(SKIP_1) | instid1(VALU_DEP_1)
	v_add_nc_u32_e32 v6, 1, v3
	s_wait_alu 0xfffd
	v_dual_mov_b32 v4, v5 :: v_dual_cndmask_b32 v3, v3, v6
.LBB0_6:                                ;   in Loop: Header=BB0_2 Depth=1
	s_wait_alu 0xfffe
	s_or_b32 exec_lo, exec_lo, s2
	s_delay_alu instid0(VALU_DEP_1) | instskip(NEXT) | instid1(VALU_DEP_2)
	v_mul_lo_u32 v6, v4, s24
	v_mul_lo_u32 v13, v3, s25
	s_load_b64 s[26:27], s[18:19], 0x0
	v_mad_co_u64_u32 v[11:12], null, v3, s24, 0
	s_load_b64 s[24:25], s[16:17], 0x0
	s_add_nc_u64 s[20:21], s[20:21], 1
	s_add_nc_u64 s[16:17], s[16:17], 8
	s_wait_alu 0xfffe
	v_cmp_ge_u64_e64 s2, s[20:21], s[10:11]
	s_add_nc_u64 s[18:19], s[18:19], 8
	s_add_nc_u64 s[22:23], s[22:23], 8
	v_add3_u32 v6, v12, v13, v6
	v_sub_co_u32 v9, vcc_lo, v9, v11
	s_wait_alu 0xfffd
	s_delay_alu instid0(VALU_DEP_2) | instskip(SKIP_2) | instid1(VALU_DEP_1)
	v_sub_co_ci_u32_e32 v6, vcc_lo, v10, v6, vcc_lo
	s_and_b32 vcc_lo, exec_lo, s2
	s_wait_kmcnt 0x0
	v_mul_lo_u32 v10, s26, v6
	v_mul_lo_u32 v11, s27, v9
	v_mad_co_u64_u32 v[7:8], null, s26, v9, v[7:8]
	v_mul_lo_u32 v6, s24, v6
	v_mul_lo_u32 v12, s25, v9
	v_mad_co_u64_u32 v[1:2], null, s24, v9, v[1:2]
	s_delay_alu instid0(VALU_DEP_4) | instskip(NEXT) | instid1(VALU_DEP_2)
	v_add3_u32 v8, v11, v8, v10
	v_add3_u32 v2, v12, v2, v6
	s_wait_alu 0xfffe
	s_cbranch_vccnz .LBB0_9
; %bb.7:                                ;   in Loop: Header=BB0_2 Depth=1
	v_dual_mov_b32 v10, v4 :: v_dual_mov_b32 v9, v3
	s_branch .LBB0_2
.LBB0_8:
	v_dual_mov_b32 v1, v7 :: v_dual_mov_b32 v2, v8
	v_dual_mov_b32 v3, v9 :: v_dual_mov_b32 v4, v10
.LBB0_9:
	s_load_b64 s[0:1], s[0:1], 0x28
	v_mul_hi_u32 v5, 0x13b13b2, v0
	v_mov_b32_e32 v6, 0
	s_lshl_b64 s[2:3], s[10:11], 3
                                        ; implicit-def: $vgpr36
                                        ; implicit-def: $vgpr19
                                        ; implicit-def: $vgpr34
                                        ; implicit-def: $vgpr20
                                        ; implicit-def: $vgpr33
                                        ; implicit-def: $vgpr23
                                        ; implicit-def: $vgpr32
                                        ; implicit-def: $vgpr24
                                        ; implicit-def: $vgpr30
                                        ; implicit-def: $vgpr27
                                        ; implicit-def: $vgpr25
                                        ; implicit-def: $vgpr28
                                        ; implicit-def: $vgpr21
                                        ; implicit-def: $vgpr29
                                        ; implicit-def: $vgpr11
                                        ; implicit-def: $vgpr39
                                        ; implicit-def: $vgpr12
                                        ; implicit-def: $vgpr38
                                        ; implicit-def: $vgpr18
                                        ; implicit-def: $vgpr37
                                        ; implicit-def: $vgpr22
                                        ; implicit-def: $vgpr35
                                        ; implicit-def: $vgpr26
                                        ; implicit-def: $vgpr31
	s_delay_alu instid0(VALU_DEP_2) | instskip(NEXT) | instid1(VALU_DEP_1)
	v_mul_u32_u24_e32 v5, 0xd0, v5
	v_sub_nc_u32_e32 v5, v0, v5
	v_mov_b32_e32 v0, 0
	s_wait_kmcnt 0x0
	v_cmp_gt_u64_e32 vcc_lo, s[0:1], v[3:4]
	s_delay_alu instid0(VALU_DEP_3) | instskip(NEXT) | instid1(VALU_DEP_1)
	v_cmp_gt_u32_e64 s0, 0x80, v5
	s_and_b32 s1, vcc_lo, s0
	s_wait_alu 0xfffe
	s_and_saveexec_b32 s10, s1
	s_cbranch_execz .LBB0_11
; %bb.10:
	s_add_nc_u64 s[12:13], s[12:13], s[2:3]
	v_lshlrev_b64_e32 v[7:8], 2, v[7:8]
	s_load_b64 s[12:13], s[12:13], 0x0
	s_wait_kmcnt 0x0
	v_mul_lo_u32 v0, s13, v3
	v_mul_lo_u32 v6, s12, v4
	v_mad_co_u64_u32 v[9:10], null, s12, v3, 0
	s_delay_alu instid0(VALU_DEP_1) | instskip(SKIP_1) | instid1(VALU_DEP_2)
	v_add3_u32 v10, v10, v6, v0
	v_mov_b32_e32 v6, 0
	v_lshlrev_b64_e32 v[9:10], 2, v[9:10]
	s_delay_alu instid0(VALU_DEP_1) | instskip(SKIP_1) | instid1(VALU_DEP_2)
	v_add_co_u32 v0, s1, s4, v9
	s_wait_alu 0xf1ff
	v_add_co_ci_u32_e64 v11, s1, s5, v10, s1
	v_lshlrev_b64_e32 v[9:10], 2, v[5:6]
	s_delay_alu instid0(VALU_DEP_3) | instskip(SKIP_1) | instid1(VALU_DEP_3)
	v_add_co_u32 v0, s1, v0, v7
	s_wait_alu 0xf1ff
	v_add_co_ci_u32_e64 v7, s1, v11, v8, s1
	s_delay_alu instid0(VALU_DEP_2) | instskip(SKIP_1) | instid1(VALU_DEP_2)
	v_add_co_u32 v6, s1, v0, v9
	s_wait_alu 0xf1ff
	v_add_co_ci_u32_e64 v7, s1, v7, v10, s1
	s_clause 0xc
	global_load_b32 v0, v[6:7], off
	global_load_b32 v19, v[6:7], off offset:512
	global_load_b32 v20, v[6:7], off offset:1024
	;; [unrolled: 1-line block ×12, first 2 shown]
	s_wait_loadcnt 0xc
	v_lshrrev_b32_e32 v6, 16, v0
	s_wait_loadcnt 0xb
	v_lshrrev_b32_e32 v36, 16, v19
	;; [unrolled: 2-line block ×13, first 2 shown]
.LBB0_11:
	s_wait_alu 0xfffe
	s_or_b32 exec_lo, exec_lo, s10
	s_and_saveexec_b32 s1, s0
	s_cbranch_execz .LBB0_13
; %bb.12:
	v_add_f16_e32 v7, v0, v19
	v_sub_f16_e32 v9, v36, v11
	v_add_f16_e32 v8, v19, v39
	v_sub_f16_e32 v13, v34, v12
	v_add_f16_e32 v10, v20, v38
	v_add_f16_e32 v7, v7, v20
	v_pk_mul_f16 v45, 0xba95b770, v9 op_sel_hi:[1,0]
	v_sub_f16_e32 v15, v33, v18
	v_pk_mul_f16 v46, 0xbb7bba95, v13 op_sel_hi:[1,0]
	v_add_f16_e32 v14, v23, v37
	v_add_f16_e32 v7, v7, v23
	v_pk_fma_f16 v55, 0x388b3b15, v8, v45 op_sel_hi:[1,0,1]
	v_sub_f16_e32 v17, v32, v22
	v_pk_mul_f16 v47, 0xb3a8bbf1, v15 op_sel_hi:[1,0]
	v_pk_fma_f16 v57, 0xb5ac388b, v10, v46 op_sel_hi:[1,0,1]
	v_add_f16_e32 v7, v7, v24
	v_pk_add_f16 v55, v0, v55 op_sel_hi:[0,1]
	v_add_f16_e32 v16, v24, v35
	v_sub_f16_e32 v41, v30, v26
	v_pk_mul_f16 v48, 0x394ebb7b, v17 op_sel_hi:[1,0]
	v_add_f16_e32 v7, v7, v27
	v_pk_mul_f16 v51, 0xbb7bbbf1, v9 op_sel_hi:[1,0]
	v_pk_fma_f16 v58, 0xbbc42fb7, v14, v47 op_sel_hi:[1,0,1]
	v_pk_add_f16 v55, v55, v57
	v_add_f16_e32 v40, v27, v31
	v_add_f16_e32 v7, v7, v28
	v_pk_mul_f16 v49, 0x3bf1b94e, v41 op_sel_hi:[1,0]
	v_pk_mul_f16 v52, 0x394eb3a8, v13 op_sel_hi:[1,0]
	;; [unrolled: 1-line block ×3, first 2 shown]
	v_pk_fma_f16 v59, 0xb5ac2fb7, v8, v51 op_sel_hi:[1,0,1]
	v_add_f16_e32 v7, v7, v29
	v_pk_fma_f16 v57, 0xb9fdb5ac, v16, v48 op_sel_hi:[1,0,1]
	v_pk_add_f16 v55, v55, v58
	v_pk_mul_f16 v53, 0x37703b7b, v15 op_sel_hi:[1,0]
	v_pk_mul_f16 v13, 0x37703bf1, v13 op_sel_hi:[1,0]
	v_add_f16_e32 v7, v7, v31
	v_pk_fma_f16 v60, 0xb9fdbbc4, v10, v52 op_sel_hi:[1,0,1]
	v_pk_add_f16 v59, v0, v59 op_sel_hi:[0,1]
	v_pk_fma_f16 v58, 0x2fb7b9fd, v40, v49 op_sel_hi:[1,0,1]
	v_pk_add_f16 v55, v55, v57
	v_add_f16_e32 v7, v35, v7
	v_pk_fma_f16 v57, 0xbbc4b9fd, v8, v9 op_sel_hi:[1,0,1]
	v_pk_fma_f16 v9, 0xbbc4b9fd, v8, v9 op_sel_hi:[1,0,1] neg_lo:[0,0,1] neg_hi:[0,0,1]
	v_pk_fma_f16 v51, 0xb5ac2fb7, v8, v51 op_sel_hi:[1,0,1] neg_lo:[0,0,1] neg_hi:[0,0,1]
	;; [unrolled: 1-line block ×3, first 2 shown]
	v_add_f16_e32 v7, v37, v7
	v_sub_f16_e32 v43, v25, v21
	v_pk_mul_f16 v54, 0xbbf13770, v17 op_sel_hi:[1,0]
	v_pk_fma_f16 v61, 0x3b15b5ac, v14, v53 op_sel_hi:[1,0,1]
	v_pk_add_f16 v59, v59, v60
	v_add_f16_e32 v7, v38, v7
	v_pk_add_f16 v55, v55, v58
	v_pk_mul_f16 v15, 0xb94eba95, v15 op_sel_hi:[1,0]
	v_pk_add_f16 v9, v0, v9 op_sel_hi:[0,1]
	v_pk_add_f16 v45, v0, v51 op_sel_hi:[0,1]
	v_add_f16_e32 v58, v39, v7
	v_pk_add_f16 v7, v0, v57 op_sel_hi:[0,1]
	v_pk_fma_f16 v57, 0x3b152fb7, v10, v13 op_sel_hi:[1,0,1]
	v_pk_fma_f16 v13, 0x3b152fb7, v10, v13 op_sel_hi:[1,0,1] neg_lo:[0,0,1] neg_hi:[0,0,1]
	v_pk_fma_f16 v51, 0xb9fdbbc4, v10, v52 op_sel_hi:[1,0,1] neg_lo:[0,0,1] neg_hi:[0,0,1]
	v_pk_add_f16 v0, v0, v8 op_sel_hi:[0,1]
	v_pk_fma_f16 v8, 0xb5ac388b, v10, v46 op_sel_hi:[1,0,1] neg_lo:[0,0,1] neg_hi:[0,0,1]
	v_add_f16_e32 v42, v28, v29
	v_pk_mul_f16 v50, 0x3770b3a8, v43 op_sel_hi:[1,0]
	v_pk_mul_f16 v56, 0x33a8ba95, v41 op_sel_hi:[1,0]
	v_pk_fma_f16 v60, 0x2fb73b15, v16, v54 op_sel_hi:[1,0,1]
	v_pk_add_f16 v59, v59, v61
	v_pk_mul_f16 v17, 0x3a9533a8, v17 op_sel_hi:[1,0]
	v_pk_add_f16 v9, v9, v13
	v_pk_fma_f16 v10, 0xb9fd388b, v14, v15 op_sel_hi:[1,0,1] neg_lo:[0,0,1] neg_hi:[0,0,1]
	v_pk_fma_f16 v62, 0xb9fd388b, v14, v15 op_sel_hi:[1,0,1]
	v_pk_add_f16 v13, v45, v51
	v_pk_fma_f16 v15, 0x3b15b5ac, v14, v53 op_sel_hi:[1,0,1] neg_lo:[0,0,1] neg_hi:[0,0,1]
	v_pk_add_f16 v0, v0, v8
	v_pk_fma_f16 v8, 0xbbc42fb7, v14, v47 op_sel_hi:[1,0,1] neg_lo:[0,0,1] neg_hi:[0,0,1]
	v_pk_fma_f16 v61, 0x3b15bbc4, v42, v50 op_sel_hi:[1,0,1]
	v_pk_add_f16 v59, v59, v60
	v_pk_fma_f16 v60, 0xbbc4388b, v40, v56 op_sel_hi:[1,0,1]
	v_pk_add_f16 v57, v7, v57
	v_pk_mul_f16 v41, 0xbb7b3770, v41 op_sel_hi:[1,0]
	v_pk_add_f16 v9, v9, v10
	v_pk_fma_f16 v10, 0x388bbbc4, v16, v17 op_sel_hi:[1,0,1] neg_lo:[0,0,1] neg_hi:[0,0,1]
	v_pk_add_f16 v13, v13, v15
	v_pk_fma_f16 v14, 0x2fb73b15, v16, v54 op_sel_hi:[1,0,1] neg_lo:[0,0,1] neg_hi:[0,0,1]
	v_pk_add_f16 v0, v0, v8
	v_pk_fma_f16 v8, 0xb9fdb5ac, v16, v48 op_sel_hi:[1,0,1] neg_lo:[0,0,1] neg_hi:[0,0,1]
	v_pk_mul_f16 v63, 0x3a95b94e, v43 op_sel_hi:[1,0]
	v_pk_add_f16 v7, v61, v55
	v_pk_add_f16 v55, v59, v60
	;; [unrolled: 1-line block ×3, first 2 shown]
	v_pk_fma_f16 v59, 0x388bbbc4, v16, v17 op_sel_hi:[1,0,1]
	v_pk_mul_f16 v43, 0x3bf1bb7b, v43 op_sel_hi:[1,0]
	v_pk_add_f16 v9, v9, v10
	v_pk_fma_f16 v10, 0xb5ac3b15, v40, v41 op_sel_hi:[1,0,1] neg_lo:[0,0,1] neg_hi:[0,0,1]
	v_pk_add_f16 v13, v13, v14
	v_pk_fma_f16 v14, 0xbbc4388b, v40, v56 op_sel_hi:[1,0,1] neg_lo:[0,0,1] neg_hi:[0,0,1]
	;; [unrolled: 2-line block ×3, first 2 shown]
	v_pk_add_f16 v57, v57, v59
	v_pk_fma_f16 v59, 0xb5ac3b15, v40, v41 op_sel_hi:[1,0,1]
	v_pk_add_f16 v9, v9, v10
	v_pk_fma_f16 v10, 0x2fb7b5ac, v42, v43 op_sel_hi:[1,0,1] neg_lo:[0,0,1] neg_hi:[0,0,1]
	v_pk_add_f16 v13, v13, v14
	v_pk_fma_f16 v14, 0x388bb9fd, v42, v63 op_sel_hi:[1,0,1] neg_lo:[0,0,1] neg_hi:[0,0,1]
	v_pk_add_f16 v0, v0, v8
	v_pk_fma_f16 v8, 0x3b15bbc4, v42, v50 op_sel_hi:[1,0,1] neg_lo:[0,0,1] neg_hi:[0,0,1]
	v_pk_fma_f16 v60, 0x388bb9fd, v42, v63 op_sel_hi:[1,0,1]
	v_pk_add_f16 v15, v57, v59
	v_pk_fma_f16 v16, 0x2fb7b5ac, v42, v43 op_sel_hi:[1,0,1]
	v_pk_add_f16 v10, v10, v9
	v_pk_add_f16 v13, v14, v13
	v_pk_add_f16 v0, v8, v0
	v_mad_u32_u24 v44, v5, 26, 0
	v_pk_add_f16 v8, v60, v55
	v_pk_add_f16 v9, v16, v15
	v_alignbit_b32 v10, v10, v10, 16
	v_alignbit_b32 v13, v13, v13, 16
	;; [unrolled: 1-line block ×3, first 2 shown]
	ds_store_b16 v44, v58
	ds_store_b128 v44, v[7:10] offset:2
	ds_store_b64 v44, v[13:14] offset:18
.LBB0_13:
	s_wait_alu 0xfffe
	s_or_b32 exec_lo, exec_lo, s1
	v_lshl_add_u32 v0, v5, 1, 0
	global_wb scope:SCOPE_SE
	s_wait_dscnt 0x0
	s_barrier_signal -1
	s_barrier_wait -1
	global_inv scope:SCOPE_SE
	ds_load_u16 v13, v0
	ds_load_u16 v8, v0 offset:416
	ds_load_u16 v9, v0 offset:832
	;; [unrolled: 1-line block ×7, first 2 shown]
	s_add_nc_u64 s[2:3], s[14:15], s[2:3]
	global_wb scope:SCOPE_SE
	s_wait_dscnt 0x0
	s_barrier_signal -1
	s_barrier_wait -1
	global_inv scope:SCOPE_SE
	s_and_saveexec_b32 s1, s0
	s_cbranch_execz .LBB0_15
; %bb.14:
	v_add_f16_e32 v7, v6, v36
	v_sub_f16_e32 v19, v19, v39
	v_add_f16_e32 v36, v36, v11
	v_sub_f16_e32 v20, v20, v38
	v_sub_f16_e32 v28, v28, v29
	v_add_f16_e32 v7, v7, v34
	v_pk_mul_f16 v29, 0xba95b770, v19 op_sel_hi:[1,0]
	v_add_f16_e32 v39, v34, v12
	v_sub_f16_e32 v23, v23, v37
	v_add_f16_e32 v37, v32, v22
	v_add_f16_e32 v7, v7, v33
	v_pk_fma_f16 v44, 0x388b3b15, v36, v29 op_sel_hi:[1,0,1] neg_lo:[0,0,1] neg_hi:[0,0,1]
	v_add_f16_e32 v34, v33, v18
	v_sub_f16_e32 v24, v24, v35
	v_add_f16_e32 v33, v30, v26
	v_add_f16_e32 v7, v7, v32
	v_pk_mul_f16 v32, 0xbb7bba95, v20 op_sel_hi:[1,0]
	v_pk_mul_f16 v35, 0xb3a8bbf1, v23 op_sel_hi:[1,0]
	v_pk_add_f16 v44, v6, v44 op_sel_hi:[0,1]
	v_sub_f16_e32 v27, v27, v31
	v_add_f16_e32 v7, v7, v30
	v_pk_fma_f16 v45, 0xb5ac388b, v39, v32 op_sel_hi:[1,0,1] neg_lo:[0,0,1] neg_hi:[0,0,1]
	v_add_f16_e32 v31, v25, v21
	v_pk_mul_f16 v38, 0x394ebb7b, v24 op_sel_hi:[1,0]
	v_pk_mul_f16 v41, 0xbb7bbbf1, v19 op_sel_hi:[1,0]
	v_add_f16_e32 v7, v7, v25
	v_pk_mul_f16 v30, 0x3bf1b94e, v27 op_sel_hi:[1,0]
	v_pk_mul_f16 v42, 0x394eb3a8, v20 op_sel_hi:[1,0]
	v_pk_fma_f16 v46, 0xb9fdb5ac, v37, v38 op_sel_hi:[1,0,1] neg_lo:[0,0,1] neg_hi:[0,0,1]
	v_pk_mul_f16 v40, 0x3770b3a8, v28 op_sel_hi:[1,0]
	v_add_f16_e32 v7, v7, v21
	v_pk_fma_f16 v21, 0xbbc42fb7, v34, v35 op_sel_hi:[1,0,1] neg_lo:[0,0,1] neg_hi:[0,0,1]
	v_pk_mul_f16 v25, 0x37703b7b, v23 op_sel_hi:[1,0]
	v_pk_fma_f16 v47, 0x2fb7b9fd, v33, v30 op_sel_hi:[1,0,1] neg_lo:[0,0,1] neg_hi:[0,0,1]
	v_pk_mul_f16 v19, 0xb3a8b94e, v19 op_sel_hi:[1,0]
	v_add_f16_e32 v7, v7, v26
	v_pk_fma_f16 v26, 0x388b3b15, v36, v29 op_sel_hi:[1,0,1]
	v_pk_fma_f16 v29, 0xb5ac388b, v39, v32 op_sel_hi:[1,0,1]
	;; [unrolled: 1-line block ×3, first 2 shown]
	v_pk_add_f16 v35, v44, v45
	v_add_f16_e32 v7, v22, v7
	v_pk_add_f16 v26, v6, v26 op_sel_hi:[0,1]
	v_pk_fma_f16 v22, 0xb9fdb5ac, v37, v38 op_sel_hi:[1,0,1]
	v_pk_fma_f16 v38, 0xb5ac2fb7, v36, v41 op_sel_hi:[1,0,1] neg_lo:[0,0,1] neg_hi:[0,0,1]
	v_pk_add_f16 v21, v35, v21
	v_add_f16_e32 v7, v18, v7
	v_pk_add_f16 v26, v26, v29
	v_pk_fma_f16 v18, 0xb9fdbbc4, v39, v42 op_sel_hi:[1,0,1] neg_lo:[0,0,1] neg_hi:[0,0,1]
	v_pk_add_f16 v29, v6, v38 op_sel_hi:[0,1]
	v_pk_add_f16 v21, v21, v46
	v_add_f16_e32 v7, v12, v7
	v_pk_add_f16 v26, v26, v32
	v_pk_fma_f16 v12, 0x3b15b5ac, v34, v25 op_sel_hi:[1,0,1] neg_lo:[0,0,1] neg_hi:[0,0,1]
	v_pk_add_f16 v18, v29, v18
	v_pk_add_f16 v21, v21, v47
	v_add_f16_e32 v11, v11, v7
	v_pk_fma_f16 v7, 0x3b15bbc4, v31, v40 op_sel_hi:[1,0,1] neg_lo:[0,0,1] neg_hi:[0,0,1]
	v_pk_add_f16 v22, v26, v22
	v_pk_fma_f16 v26, 0x2fb7b9fd, v33, v30 op_sel_hi:[1,0,1]
	v_pk_fma_f16 v32, 0xb5ac2fb7, v36, v41 op_sel_hi:[1,0,1]
	v_pk_add_f16 v12, v18, v12
	v_pk_add_f16 v18, v7, v21
	v_pk_fma_f16 v25, 0x3b15b5ac, v34, v25 op_sel_hi:[1,0,1]
	v_pk_add_f16 v7, v22, v26
	v_pk_add_f16 v22, v6, v32 op_sel_hi:[0,1]
	v_pk_fma_f16 v26, 0xb9fdbbc4, v39, v42 op_sel_hi:[1,0,1]
	v_pk_mul_f16 v20, 0x37703bf1, v20 op_sel_hi:[1,0]
	v_pk_mul_f16 v43, 0xbbf13770, v24 op_sel_hi:[1,0]
	;; [unrolled: 1-line block ×4, first 2 shown]
	v_pk_add_f16 v22, v22, v26
	v_pk_fma_f16 v26, 0xbbc4b9fd, v36, v19 op_sel_hi:[1,0,1]
	v_pk_fma_f16 v19, 0xbbc4b9fd, v36, v19 op_sel_hi:[1,0,1] neg_lo:[0,0,1] neg_hi:[0,0,1]
	v_pk_fma_f16 v29, 0x2fb73b15, v37, v43 op_sel_hi:[1,0,1] neg_lo:[0,0,1] neg_hi:[0,0,1]
	v_pk_mul_f16 v30, 0x33a8ba95, v27 op_sel_hi:[1,0]
	v_pk_add_f16 v22, v22, v25
	v_pk_add_f16 v25, v6, v26 op_sel_hi:[0,1]
	v_pk_fma_f16 v26, 0x3b152fb7, v39, v20 op_sel_hi:[1,0,1]
	v_pk_add_f16 v6, v6, v19 op_sel_hi:[0,1]
	v_pk_fma_f16 v19, 0x3b152fb7, v39, v20 op_sel_hi:[1,0,1] neg_lo:[0,0,1] neg_hi:[0,0,1]
	v_pk_fma_f16 v20, 0x2fb73b15, v37, v43 op_sel_hi:[1,0,1]
	v_pk_add_f16 v12, v12, v29
	v_pk_add_f16 v25, v25, v26
	v_pk_fma_f16 v26, 0xb9fd388b, v34, v23 op_sel_hi:[1,0,1]
	v_pk_add_f16 v6, v6, v19
	v_pk_fma_f16 v19, 0xb9fd388b, v34, v23 op_sel_hi:[1,0,1] neg_lo:[0,0,1] neg_hi:[0,0,1]
	v_pk_add_f16 v20, v22, v20
	v_pk_fma_f16 v23, 0x388bbbc4, v37, v24 op_sel_hi:[1,0,1]
	v_pk_add_f16 v22, v25, v26
	v_pk_mul_f16 v25, 0xbb7b3770, v27 op_sel_hi:[1,0]
	v_pk_fma_f16 v21, 0xbbc4388b, v33, v30 op_sel_hi:[1,0,1] neg_lo:[0,0,1] neg_hi:[0,0,1]
	v_pk_add_f16 v6, v6, v19
	v_pk_fma_f16 v19, 0x388bbbc4, v37, v24 op_sel_hi:[1,0,1] neg_lo:[0,0,1] neg_hi:[0,0,1]
	v_pk_add_f16 v22, v22, v23
	v_pk_fma_f16 v23, 0xb5ac3b15, v33, v25 op_sel_hi:[1,0,1]
	v_pk_mul_f16 v26, 0x3bf1bb7b, v28 op_sel_hi:[1,0]
	v_pk_add_f16 v12, v12, v21
	v_pk_mul_f16 v21, 0x3a95b94e, v28 op_sel_hi:[1,0]
	v_pk_fma_f16 v24, 0xbbc4388b, v33, v30 op_sel_hi:[1,0,1]
	v_pk_add_f16 v6, v6, v19
	v_pk_fma_f16 v19, 0xb5ac3b15, v33, v25 op_sel_hi:[1,0,1] neg_lo:[0,0,1] neg_hi:[0,0,1]
	v_pk_add_f16 v22, v22, v23
	v_pk_fma_f16 v23, 0x2fb7b5ac, v31, v26 op_sel_hi:[1,0,1]
	v_pk_fma_f16 v29, 0x3b15bbc4, v31, v40 op_sel_hi:[1,0,1]
	v_pk_fma_f16 v32, 0x388bb9fd, v31, v21 op_sel_hi:[1,0,1] neg_lo:[0,0,1] neg_hi:[0,0,1]
	v_pk_add_f16 v20, v20, v24
	v_pk_fma_f16 v21, 0x388bb9fd, v31, v21 op_sel_hi:[1,0,1]
	v_pk_add_f16 v6, v6, v19
	v_pk_fma_f16 v24, 0x2fb7b5ac, v31, v26 op_sel_hi:[1,0,1] neg_lo:[0,0,1] neg_hi:[0,0,1]
	v_pk_add_f16 v22, v23, v22
	v_pk_add_f16 v7, v29, v7
	;; [unrolled: 1-line block ×4, first 2 shown]
	v_mad_u32_u24 v12, v5, 24, v0
	v_pk_add_f16 v20, v24, v6
	v_alignbit_b32 v21, v22, v22, 16
	v_alignbit_b32 v6, v23, v23, 16
	;; [unrolled: 1-line block ×3, first 2 shown]
	ds_store_b16 v12, v11
	ds_store_b128 v12, v[18:21] offset:2
	ds_store_b64 v12, v[6:7] offset:18
.LBB0_15:
	s_wait_alu 0xfffe
	s_or_b32 exec_lo, exec_lo, s1
	v_and_b32_e32 v6, 0xff, v5
	v_add_nc_u32_e32 v18, 0xd0, v5
	v_add_nc_u32_e32 v12, 0x1a0, v5
	;; [unrolled: 1-line block ×3, first 2 shown]
	s_load_b64 s[2:3], s[2:3], 0x0
	v_mul_lo_u16 v19, 0x4f, v6
	v_and_b32_e32 v6, 0xffff, v18
	v_and_b32_e32 v7, 0xffff, v12
	;; [unrolled: 1-line block ×3, first 2 shown]
	global_wb scope:SCOPE_SE
	s_wait_dscnt 0x0
	v_lshrrev_b16 v21, 10, v19
	v_mul_u32_u24_e32 v22, 0x4ec5, v6
	v_mul_u32_u24_e32 v7, 0x4ec5, v7
	v_mul_u32_u24_e32 v6, 0x4ec5, v20
	s_wait_kmcnt 0x0
	s_barrier_signal -1
	v_mul_lo_u16 v20, v21, 13
	v_lshrrev_b32_e32 v23, 18, v22
	v_lshrrev_b32_e32 v24, 18, v7
	;; [unrolled: 1-line block ×3, first 2 shown]
	s_barrier_wait -1
	v_sub_nc_u16 v20, v5, v20
	v_mul_lo_u16 v26, v23, 13
	v_mul_lo_u16 v27, v24, 13
	;; [unrolled: 1-line block ×3, first 2 shown]
	global_inv scope:SCOPE_SE
	v_and_b32_e32 v20, 0xff, v20
	v_sub_nc_u16 v26, v18, v26
	v_sub_nc_u16 v27, v12, v27
	;; [unrolled: 1-line block ×3, first 2 shown]
	v_and_b32_e32 v21, 0xffff, v21
	v_lshlrev_b32_e32 v29, 2, v20
	v_and_b32_e32 v26, 0xffff, v26
	v_and_b32_e32 v27, 0xffff, v27
	;; [unrolled: 1-line block ×3, first 2 shown]
	v_mul_u32_u24_e32 v21, 52, v21
	global_load_b32 v29, v29, s[8:9]
	v_lshlrev_b32_e32 v30, 2, v26
	v_lshlrev_b32_e32 v31, 2, v27
	;; [unrolled: 1-line block ×4, first 2 shown]
	s_clause 0x2
	global_load_b32 v30, v30, s[8:9]
	global_load_b32 v31, v31, s[8:9]
	;; [unrolled: 1-line block ×3, first 2 shown]
	ds_load_u16 v33, v0
	ds_load_u16 v34, v0 offset:416
	ds_load_u16 v35, v0 offset:832
	;; [unrolled: 1-line block ×7, first 2 shown]
	v_mul_u32_u24_e32 v23, 52, v23
	v_mul_u32_u24_e32 v24, 52, v24
	;; [unrolled: 1-line block ×3, first 2 shown]
	v_add3_u32 v20, 0, v21, v20
	v_lshlrev_b32_e32 v21, 1, v26
	v_lshlrev_b32_e32 v26, 1, v27
	v_lshlrev_b32_e32 v27, 1, v28
	v_lshrrev_b16 v36, 11, v19
	v_lshrrev_b32_e32 v43, 19, v22
	v_lshrrev_b32_e32 v44, 19, v7
	v_add3_u32 v21, 0, v23, v21
	v_add3_u32 v23, 0, v24, v26
	;; [unrolled: 1-line block ×3, first 2 shown]
	v_lshrrev_b32_e32 v45, 19, v6
	v_mul_lo_u16 v42, v36, 26
	v_mul_lo_u16 v46, v43, 26
	;; [unrolled: 1-line block ×3, first 2 shown]
	global_wb scope:SCOPE_SE
	s_wait_loadcnt_dscnt 0x0
	v_mul_lo_u16 v48, v45, 26
	v_sub_nc_u16 v42, v5, v42
	v_sub_nc_u16 v46, v18, v46
	;; [unrolled: 1-line block ×3, first 2 shown]
	s_barrier_signal -1
	v_sub_nc_u16 v48, v11, v48
	v_and_b32_e32 v42, 0xff, v42
	v_and_b32_e32 v46, 0xffff, v46
	;; [unrolled: 1-line block ×3, first 2 shown]
	s_barrier_wait -1
	v_and_b32_e32 v48, 0xffff, v48
	v_lshlrev_b32_e32 v49, 2, v42
	v_lshlrev_b32_e32 v28, 2, v46
	;; [unrolled: 1-line block ×3, first 2 shown]
	global_inv scope:SCOPE_SE
	v_lshlrev_b32_e32 v51, 2, v48
	v_lshrrev_b32_e32 v22, 20, v22
	v_lshrrev_b16 v19, 12, v19
	v_lshrrev_b32_e32 v7, 22, v7
	v_lshrrev_b32_e32 v52, 16, v29
	;; [unrolled: 1-line block ×3, first 2 shown]
	s_delay_alu instid0(VALU_DEP_2) | instskip(SKIP_3) | instid1(VALU_DEP_4)
	v_mul_f16_e32 v25, v40, v52
	v_mul_f16_e32 v26, v17, v52
	v_lshrrev_b32_e32 v52, 16, v31
	v_lshrrev_b32_e32 v53, 16, v32
	v_fmac_f16_e32 v25, v17, v29
	s_delay_alu instid0(VALU_DEP_4)
	v_fma_f16 v17, v40, v29, -v26
	v_mul_f16_e32 v26, v37, v27
	v_mul_f16_e32 v27, v16, v27
	;; [unrolled: 1-line block ×6, first 2 shown]
	v_fmac_f16_e32 v26, v16, v30
	v_fma_f16 v16, v37, v30, -v27
	v_fmac_f16_e32 v29, v15, v31
	v_sub_f16_e32 v15, v13, v25
	v_fma_f16 v25, v38, v31, -v40
	v_fmac_f16_e32 v52, v14, v32
	v_sub_f16_e32 v17, v33, v17
	v_fma_f16 v14, v39, v32, -v53
	v_sub_f16_e32 v26, v8, v26
	v_sub_f16_e32 v16, v34, v16
	;; [unrolled: 1-line block ×5, first 2 shown]
	v_fma_f16 v13, v13, 2.0, -v15
	v_fma_f16 v27, v33, 2.0, -v17
	v_sub_f16_e32 v14, v41, v14
	v_fma_f16 v8, v8, 2.0, -v26
	v_fma_f16 v31, v34, 2.0, -v16
	;; [unrolled: 1-line block ×6, first 2 shown]
	ds_store_b16 v20, v13
	ds_store_b16 v20, v15 offset:26
	ds_store_b16 v21, v8
	ds_store_b16 v21, v26 offset:26
	;; [unrolled: 2-line block ×4, first 2 shown]
	global_wb scope:SCOPE_SE
	s_wait_dscnt 0x0
	s_barrier_signal -1
	s_barrier_wait -1
	global_inv scope:SCOPE_SE
	ds_load_u16 v8, v0
	ds_load_u16 v9, v0 offset:416
	ds_load_u16 v10, v0 offset:832
	;; [unrolled: 1-line block ×7, first 2 shown]
	global_wb scope:SCOPE_SE
	s_wait_dscnt 0x0
	s_barrier_signal -1
	s_barrier_wait -1
	global_inv scope:SCOPE_SE
	ds_store_b16 v20, v27
	ds_store_b16 v20, v17 offset:26
	ds_store_b16 v21, v31
	ds_store_b16 v21, v16 offset:26
	ds_store_b16 v23, v32
	ds_store_b16 v23, v25 offset:26
	ds_store_b16 v24, v33
	ds_store_b16 v24, v14 offset:26
	global_wb scope:SCOPE_SE
	s_wait_dscnt 0x0
	s_barrier_signal -1
	s_barrier_wait -1
	global_inv scope:SCOPE_SE
	s_clause 0x3
	global_load_b32 v14, v49, s[8:9] offset:52
	global_load_b32 v16, v28, s[8:9] offset:52
	global_load_b32 v17, v50, s[8:9] offset:52
	global_load_b32 v20, v51, s[8:9] offset:52
	v_and_b32_e32 v23, 0xffff, v36
	v_mul_lo_u16 v24, v22, 52
	v_mul_u32_u24_e32 v25, 0x68, v43
	v_mul_u32_u24_e32 v27, 0x68, v44
	;; [unrolled: 1-line block ×4, first 2 shown]
	v_sub_nc_u16 v18, v18, v24
	v_lshlrev_b32_e32 v24, 1, v42
	v_lshlrev_b32_e32 v33, 1, v48
	ds_load_u16 v35, v0 offset:1664
	v_mul_lo_u16 v21, v19, 52
	v_and_b32_e32 v32, 0xffff, v18
	v_add3_u32 v18, 0, v23, v24
	v_lshlrev_b32_e32 v23, 1, v46
	v_lshlrev_b32_e32 v24, 1, v47
	v_add3_u32 v28, 0, v28, v33
	ds_load_u16 v33, v0 offset:2912
	v_sub_nc_u16 v21, v5, v21
	v_add3_u32 v23, 0, v25, v23
	ds_load_u16 v25, v0 offset:2080
	v_add3_u32 v24, 0, v27, v24
	ds_load_u16 v27, v0 offset:2496
	ds_load_u16 v36, v0
	ds_load_u16 v37, v0 offset:416
	ds_load_u16 v38, v0 offset:832
	;; [unrolled: 1-line block ×3, first 2 shown]
	v_and_b32_e32 v21, 0xff, v21
	v_mul_u32_u24_e32 v34, 3, v32
	global_wb scope:SCOPE_SE
	s_wait_loadcnt_dscnt 0x0
	s_barrier_signal -1
	s_barrier_wait -1
	v_mul_u32_u24_e32 v31, 3, v21
	v_lshlrev_b32_e32 v34, 2, v34
	global_inv scope:SCOPE_SE
	v_lshlrev_b32_e32 v21, 1, v21
	v_mul_u32_u24_e32 v22, 0x1a0, v22
	v_lshlrev_b32_e32 v31, 2, v31
	v_lshrrev_b32_e32 v40, 16, v14
	v_lshrrev_b32_e32 v41, 16, v16
	;; [unrolled: 1-line block ×4, first 2 shown]
	s_delay_alu instid0(VALU_DEP_4)
	v_mul_f16_e32 v44, v35, v40
	v_mul_f16_e32 v40, v29, v40
	;; [unrolled: 1-line block ×8, first 2 shown]
	v_fmac_f16_e32 v44, v29, v14
	v_fma_f16 v14, v35, v14, -v40
	v_fmac_f16_e32 v45, v13, v16
	v_fma_f16 v13, v25, v16, -v41
	;; [unrolled: 2-line block ×4, first 2 shown]
	v_sub_f16_e32 v17, v8, v44
	v_sub_f16_e32 v14, v36, v14
	;; [unrolled: 1-line block ×8, first 2 shown]
	v_fma_f16 v8, v8, 2.0, -v17
	v_fma_f16 v27, v36, 2.0, -v14
	;; [unrolled: 1-line block ×8, first 2 shown]
	ds_store_b16 v18, v8
	ds_store_b16 v18, v17 offset:52
	ds_store_b16 v23, v9
	ds_store_b16 v23, v20 offset:52
	;; [unrolled: 2-line block ×4, first 2 shown]
	global_wb scope:SCOPE_SE
	s_wait_dscnt 0x0
	s_barrier_signal -1
	s_barrier_wait -1
	global_inv scope:SCOPE_SE
	ds_load_u16 v20, v0
	ds_load_u16 v25, v0 offset:2912
	ds_load_u16 v26, v0 offset:2496
	;; [unrolled: 1-line block ×7, first 2 shown]
	global_wb scope:SCOPE_SE
	s_wait_dscnt 0x0
	s_barrier_signal -1
	s_barrier_wait -1
	global_inv scope:SCOPE_SE
	ds_store_b16 v18, v27
	ds_store_b16 v18, v14 offset:52
	ds_store_b16 v23, v29
	ds_store_b16 v23, v13 offset:52
	;; [unrolled: 2-line block ×4, first 2 shown]
	global_wb scope:SCOPE_SE
	s_wait_dscnt 0x0
	s_barrier_signal -1
	s_barrier_wait -1
	global_inv scope:SCOPE_SE
	s_clause 0x1
	global_load_b96 v[13:15], v31, s[8:9] offset:156
	global_load_b96 v[16:18], v34, s[8:9] offset:156
	v_lshrrev_b32_e32 v8, 22, v6
	v_dual_mov_b32 v6, 0 :: v_dual_and_b32 v9, 0xffff, v19
	v_mul_lo_u16 v10, 0xd0, v7
	ds_load_u16 v27, v0 offset:832
	v_mul_lo_u16 v19, 0xd0, v8
	v_lshlrev_b64_e32 v[7:8], 2, v[5:6]
	v_mul_u32_u24_e32 v5, 0x1a0, v9
	v_sub_nc_u16 v23, v12, v10
	s_delay_alu instid0(VALU_DEP_4) | instskip(NEXT) | instid1(VALU_DEP_3)
	v_sub_nc_u16 v19, v11, v19
	v_add3_u32 v5, 0, v5, v21
	v_lshlrev_b32_e32 v21, 1, v32
	ds_load_u16 v29, v0 offset:1664
	ds_load_u16 v31, v0 offset:2912
	;; [unrolled: 1-line block ×5, first 2 shown]
	v_and_b32_e32 v23, 0xffff, v23
	v_and_b32_e32 v19, 0xffff, v19
	v_add_co_u32 v9, s0, s8, v7
	v_add3_u32 v21, 0, v22, v21
	ds_load_u16 v22, v0
	ds_load_u16 v35, v0 offset:416
	s_wait_alu 0xf1ff
	v_add_co_ci_u32_e64 v10, s0, s9, v8, s0
	v_lshlrev_b32_e32 v24, 2, v23
	v_lshlrev_b32_e32 v28, 2, v19
	global_wb scope:SCOPE_SE
	s_wait_loadcnt_dscnt 0x0
	s_barrier_signal -1
	s_barrier_wait -1
	global_inv scope:SCOPE_SE
	v_lshl_add_u32 v23, v23, 1, 0
	v_lshl_add_u32 v19, v19, 1, 0
	v_lshrrev_b32_e32 v40, 16, v13
	v_lshrrev_b32_e32 v41, 16, v14
	v_lshrrev_b32_e32 v42, 16, v15
	v_lshrrev_b32_e32 v43, 16, v16
	v_lshrrev_b32_e32 v44, 16, v17
	v_lshrrev_b32_e32 v45, 16, v18
	v_mul_f16_e32 v46, v27, v40
	v_mul_f16_e32 v40, v38, v40
	v_mul_f16_e32 v47, v29, v41
	v_mul_f16_e32 v41, v36, v41
	v_mul_f16_e32 v48, v32, v42
	v_mul_f16_e32 v42, v26, v42
	v_mul_f16_e32 v49, v34, v43
	v_mul_f16_e32 v43, v37, v43
	v_mul_f16_e32 v50, v33, v44
	v_mul_f16_e32 v44, v30, v44
	v_mul_f16_e32 v51, v31, v45
	v_mul_f16_e32 v45, v25, v45
	v_fmac_f16_e32 v46, v38, v13
	v_fma_f16 v13, v27, v13, -v40
	v_fmac_f16_e32 v47, v36, v14
	v_fma_f16 v14, v29, v14, -v41
	v_fmac_f16_e32 v48, v26, v15
	v_fma_f16 v15, v32, v15, -v42
	v_fmac_f16_e32 v49, v37, v16
	v_fma_f16 v16, v34, v16, -v43
	v_fmac_f16_e32 v50, v30, v17
	v_fma_f16 v17, v33, v17, -v44
	v_fmac_f16_e32 v51, v25, v18
	v_fma_f16 v18, v31, v18, -v45
	v_sub_f16_e32 v25, v20, v47
	v_sub_f16_e32 v14, v22, v14
	;; [unrolled: 1-line block ×8, first 2 shown]
	v_fma_f16 v20, v20, 2.0, -v25
	v_fma_f16 v22, v22, 2.0, -v14
	;; [unrolled: 1-line block ×8, first 2 shown]
	v_sub_f16_e32 v30, v20, v30
	v_sub_f16_e32 v13, v22, v13
	v_add_f16_e32 v15, v25, v15
	v_sub_f16_e32 v26, v14, v26
	v_add_f16_e32 v18, v27, v18
	v_sub_f16_e32 v33, v31, v33
	v_sub_f16_e32 v16, v32, v16
	;; [unrolled: 1-line block ×3, first 2 shown]
	v_fma_f16 v20, v20, 2.0, -v30
	v_fma_f16 v22, v22, 2.0, -v13
	v_fma_f16 v25, v25, 2.0, -v15
	v_fma_f16 v14, v14, 2.0, -v26
	v_fma_f16 v27, v27, 2.0, -v18
	v_fma_f16 v31, v31, 2.0, -v33
	v_fma_f16 v32, v32, 2.0, -v16
	v_fma_f16 v17, v17, 2.0, -v29
	ds_store_b16 v5, v20
	ds_store_b16 v5, v25 offset:104
	ds_store_b16 v5, v30 offset:208
	;; [unrolled: 1-line block ×3, first 2 shown]
	ds_store_b16 v21, v31
	ds_store_b16 v21, v27 offset:104
	ds_store_b16 v21, v33 offset:208
	;; [unrolled: 1-line block ×3, first 2 shown]
	global_wb scope:SCOPE_SE
	s_wait_dscnt 0x0
	s_barrier_signal -1
	s_barrier_wait -1
	global_inv scope:SCOPE_SE
	ds_load_u16 v15, v0
	ds_load_u16 v18, v0 offset:416
	ds_load_u16 v20, v0 offset:832
	;; [unrolled: 1-line block ×7, first 2 shown]
	global_wb scope:SCOPE_SE
	s_wait_dscnt 0x0
	s_barrier_signal -1
	s_barrier_wait -1
	global_inv scope:SCOPE_SE
	ds_store_b16 v5, v22
	ds_store_b16 v5, v14 offset:104
	ds_store_b16 v5, v13 offset:208
	;; [unrolled: 1-line block ×3, first 2 shown]
	ds_store_b16 v21, v32
	ds_store_b16 v21, v17 offset:104
	ds_store_b16 v21, v16 offset:208
	;; [unrolled: 1-line block ×3, first 2 shown]
	global_wb scope:SCOPE_SE
	s_wait_dscnt 0x0
	s_barrier_signal -1
	s_barrier_wait -1
	global_inv scope:SCOPE_SE
	s_clause 0x2
	global_load_b32 v5, v[9:10], off offset:780
	global_load_b32 v13, v24, s[8:9] offset:780
	global_load_b32 v14, v28, s[8:9] offset:780
	ds_load_u16 v16, v0 offset:1664
	ds_load_u16 v17, v0 offset:2080
	;; [unrolled: 1-line block ×4, first 2 shown]
	ds_load_u16 v24, v0
	ds_load_u16 v26, v0 offset:416
	ds_load_u16 v28, v0 offset:832
	ds_load_u16 v29, v0 offset:1248
	global_wb scope:SCOPE_SE
	s_wait_loadcnt_dscnt 0x0
	s_barrier_signal -1
	s_barrier_wait -1
	global_inv scope:SCOPE_SE
	v_lshrrev_b32_e32 v32, 16, v5
	v_lshrrev_b32_e32 v34, 16, v13
	;; [unrolled: 1-line block ×3, first 2 shown]
	s_delay_alu instid0(VALU_DEP_3)
	v_mul_f16_e32 v36, v16, v32
	v_mul_f16_e32 v37, v31, v32
	v_mul_f16_e32 v38, v17, v32
	v_mul_f16_e32 v32, v25, v32
	v_mul_f16_e32 v39, v21, v34
	v_mul_f16_e32 v34, v27, v34
	v_mul_f16_e32 v40, v22, v35
	v_mul_f16_e32 v35, v30, v35
	v_fmac_f16_e32 v36, v31, v5
	v_fma_f16 v16, v16, v5, -v37
	v_fmac_f16_e32 v38, v25, v5
	v_fma_f16 v5, v17, v5, -v32
	;; [unrolled: 2-line block ×4, first 2 shown]
	v_sub_f16_e32 v17, v15, v36
	v_sub_f16_e32 v16, v24, v16
	;; [unrolled: 1-line block ×8, first 2 shown]
	v_fma_f16 v15, v15, 2.0, -v17
	v_fma_f16 v24, v24, 2.0, -v16
	;; [unrolled: 1-line block ×8, first 2 shown]
	ds_store_b16 v0, v15
	ds_store_b16 v0, v17 offset:416
	ds_store_b16 v0, v18 offset:832
	;; [unrolled: 1-line block ×7, first 2 shown]
	global_wb scope:SCOPE_SE
	s_wait_dscnt 0x0
	s_barrier_signal -1
	s_barrier_wait -1
	global_inv scope:SCOPE_SE
	ds_load_u16 v15, v0
	ds_load_u16 v17, v0 offset:416
	ds_load_u16 v18, v0 offset:832
	;; [unrolled: 1-line block ×7, first 2 shown]
	global_wb scope:SCOPE_SE
	s_wait_dscnt 0x0
	s_barrier_signal -1
	s_barrier_wait -1
	global_inv scope:SCOPE_SE
	ds_store_b16 v0, v24
	ds_store_b16 v0, v16 offset:416
	ds_store_b16 v0, v26 offset:832
	;; [unrolled: 1-line block ×7, first 2 shown]
	global_wb scope:SCOPE_SE
	s_wait_dscnt 0x0
	s_barrier_signal -1
	s_barrier_wait -1
	global_inv scope:SCOPE_SE
	s_clause 0x1
	global_load_b32 v5, v[9:10], off offset:1612
	global_load_b32 v13, v[9:10], off offset:2444
	ds_load_u16 v14, v0 offset:1664
	ds_load_u16 v16, v0 offset:2080
	;; [unrolled: 1-line block ×4, first 2 shown]
	ds_load_u16 v24, v0
	ds_load_u16 v26, v0 offset:416
	ds_load_u16 v27, v0 offset:832
	;; [unrolled: 1-line block ×3, first 2 shown]
	global_wb scope:SCOPE_SE
	s_wait_loadcnt_dscnt 0x0
	s_barrier_signal -1
	s_barrier_wait -1
	global_inv scope:SCOPE_SE
	v_lshrrev_b32_e32 v30, 16, v5
	v_lshrrev_b32_e32 v31, 16, v13
	s_delay_alu instid0(VALU_DEP_2) | instskip(SKIP_1) | instid1(VALU_DEP_3)
	v_mul_f16_e32 v32, v14, v30
	v_mul_f16_e32 v33, v25, v30
	;; [unrolled: 1-line block ×8, first 2 shown]
	v_fmac_f16_e32 v32, v25, v5
	v_fma_f16 v14, v14, v5, -v33
	v_fmac_f16_e32 v34, v20, v13
	v_fma_f16 v16, v16, v13, -v35
	v_fmac_f16_e32 v36, v21, v5
	v_fmac_f16_e32 v37, v22, v13
	v_fma_f16 v5, v19, v5, -v30
	v_fma_f16 v13, v23, v13, -v31
	v_sub_f16_e32 v19, v15, v32
	v_sub_f16_e32 v21, v24, v14
	;; [unrolled: 1-line block ×7, first 2 shown]
	v_fma_f16 v13, v15, 2.0, -v19
	v_fma_f16 v15, v17, 2.0, -v14
	v_fma_f16 v17, v18, 2.0, -v16
	v_fma_f16 v18, v28, 2.0, -v20
	ds_store_b16 v0, v13
	ds_store_b16 v0, v15 offset:416
	ds_store_b16 v0, v19 offset:832
	;; [unrolled: 1-line block ×7, first 2 shown]
	global_wb scope:SCOPE_SE
	s_wait_dscnt 0x0
	s_barrier_signal -1
	s_barrier_wait -1
	global_inv scope:SCOPE_SE
	ds_load_u16 v13, v0
	ds_load_u16 v14, v0 offset:416
	ds_load_u16 v15, v0 offset:832
	;; [unrolled: 1-line block ×7, first 2 shown]
	v_sub_f16_e32 v5, v27, v5
	v_fma_f16 v24, v24, 2.0, -v21
	v_fma_f16 v25, v26, 2.0, -v22
	global_wb scope:SCOPE_SE
	s_wait_dscnt 0x0
	s_barrier_signal -1
	v_fma_f16 v26, v27, 2.0, -v5
	v_fma_f16 v27, v29, 2.0, -v23
	s_barrier_wait -1
	global_inv scope:SCOPE_SE
	ds_store_b16 v0, v24
	ds_store_b16 v0, v25 offset:416
	ds_store_b16 v0, v21 offset:832
	;; [unrolled: 1-line block ×7, first 2 shown]
	global_wb scope:SCOPE_SE
	s_wait_dscnt 0x0
	s_barrier_signal -1
	s_barrier_wait -1
	global_inv scope:SCOPE_SE
	s_and_saveexec_b32 s0, vcc_lo
	s_cbranch_execz .LBB0_17
; %bb.16:
	s_clause 0x3
	global_load_b32 v21, v[9:10], off offset:5772
	global_load_b32 v22, v[9:10], off offset:4940
	;; [unrolled: 1-line block ×4, first 2 shown]
	v_mul_lo_u32 v5, s3, v3
	v_mul_lo_u32 v10, s2, v4
	v_mad_co_u64_u32 v[3:4], null, s2, v3, 0
	v_mul_hi_u32 v12, 0x4ec4ec4f, v12
	s_delay_alu instid0(VALU_DEP_2) | instskip(SKIP_1) | instid1(VALU_DEP_3)
	v_add3_u32 v4, v4, v10, v5
	v_mul_hi_u32 v5, 0x4ec4ec4f, v11
	v_lshrrev_b32_e32 v11, 8, v12
	ds_load_u16 v10, v0 offset:2912
	ds_load_u16 v24, v0 offset:2496
	;; [unrolled: 1-line block ×7, first 2 shown]
	ds_load_u16 v29, v0
	v_lshlrev_b64_e32 v[3:4], 2, v[3:4]
	v_lshlrev_b64_e32 v[0:1], 2, v[1:2]
	v_lshrrev_b32_e32 v30, 8, v5
	v_mul_u32_u24_e32 v5, 0x340, v11
	s_delay_alu instid0(VALU_DEP_4) | instskip(SKIP_2) | instid1(VALU_DEP_3)
	v_add_co_u32 v11, vcc_lo, s6, v3
	s_wait_alu 0xfffd
	v_add_co_ci_u32_e32 v4, vcc_lo, s7, v4, vcc_lo
	v_lshlrev_b64_e32 v[2:3], 2, v[5:6]
	s_delay_alu instid0(VALU_DEP_3) | instskip(SKIP_1) | instid1(VALU_DEP_3)
	v_add_co_u32 v0, vcc_lo, v11, v0
	s_wait_alu 0xfffd
	v_add_co_ci_u32_e32 v1, vcc_lo, v4, v1, vcc_lo
	v_mul_u32_u24_e32 v5, 0x340, v30
	s_delay_alu instid0(VALU_DEP_3) | instskip(SKIP_1) | instid1(VALU_DEP_3)
	v_add_co_u32 v0, vcc_lo, v0, v7
	s_wait_alu 0xfffd
	v_add_co_ci_u32_e32 v1, vcc_lo, v1, v8, vcc_lo
	s_delay_alu instid0(VALU_DEP_3) | instskip(NEXT) | instid1(VALU_DEP_3)
	v_lshlrev_b64_e32 v[4:5], 2, v[5:6]
	v_add_co_u32 v2, vcc_lo, v0, v2
	s_wait_alu 0xfffd
	s_delay_alu instid0(VALU_DEP_3) | instskip(NEXT) | instid1(VALU_DEP_3)
	v_add_co_ci_u32_e32 v3, vcc_lo, v1, v3, vcc_lo
	v_add_co_u32 v4, vcc_lo, v0, v4
	s_wait_alu 0xfffd
	v_add_co_ci_u32_e32 v5, vcc_lo, v1, v5, vcc_lo
	s_wait_loadcnt 0x3
	v_lshrrev_b32_e32 v6, 16, v21
	v_mul_f16_e32 v7, v20, v21
	s_wait_loadcnt 0x1
	v_lshrrev_b32_e32 v30, 16, v23
	s_wait_loadcnt 0x0
	v_lshrrev_b32_e32 v32, 16, v9
	v_lshrrev_b32_e32 v8, 16, v22
	v_mul_f16_e32 v11, v19, v22
	v_mul_f16_e32 v33, v18, v9
	;; [unrolled: 1-line block ×5, first 2 shown]
	s_wait_dscnt 0x7
	v_fmac_f16_e32 v7, v10, v6
	v_mul_f16_e32 v6, v20, v6
	s_wait_dscnt 0x6
	v_fmac_f16_e32 v11, v24, v8
	v_mul_f16_e32 v8, v19, v8
	s_wait_dscnt 0x4
	v_fmac_f16_e32 v33, v26, v32
	v_fma_f16 v9, v26, v9, -v18
	v_fmac_f16_e32 v31, v25, v30
	v_fma_f16 v17, v25, v23, -v17
	v_fma_f16 v6, v10, v21, -v6
	;; [unrolled: 1-line block ×3, first 2 shown]
	v_sub_f16_e32 v19, v13, v33
	s_wait_dscnt 0x0
	v_sub_f16_e32 v9, v29, v9
	v_sub_f16_e32 v10, v15, v11
	;; [unrolled: 1-line block ×7, first 2 shown]
	v_fma_f16 v13, v13, 2.0, -v19
	v_fma_f16 v20, v29, 2.0, -v9
	;; [unrolled: 1-line block ×8, first 2 shown]
	v_pack_b32_f16 v8, v10, v8
	v_pack_b32_f16 v10, v13, v20
	;; [unrolled: 1-line block ×8, first 2 shown]
	s_clause 0x7
	global_store_b32 v[0:1], v10, off
	global_store_b32 v[0:1], v13, off offset:832
	global_store_b32 v[0:1], v9, off offset:3328
	;; [unrolled: 1-line block ×7, first 2 shown]
.LBB0_17:
	s_nop 0
	s_sendmsg sendmsg(MSG_DEALLOC_VGPRS)
	s_endpgm
	.section	.rodata,"a",@progbits
	.p2align	6, 0x0
	.amdhsa_kernel fft_rtc_back_len1664_factors_13_2_2_4_2_2_2_wgs_208_tpt_208_halfLds_half_op_CI_CI_unitstride_sbrr_dirReg
		.amdhsa_group_segment_fixed_size 0
		.amdhsa_private_segment_fixed_size 0
		.amdhsa_kernarg_size 104
		.amdhsa_user_sgpr_count 2
		.amdhsa_user_sgpr_dispatch_ptr 0
		.amdhsa_user_sgpr_queue_ptr 0
		.amdhsa_user_sgpr_kernarg_segment_ptr 1
		.amdhsa_user_sgpr_dispatch_id 0
		.amdhsa_user_sgpr_private_segment_size 0
		.amdhsa_wavefront_size32 1
		.amdhsa_uses_dynamic_stack 0
		.amdhsa_enable_private_segment 0
		.amdhsa_system_sgpr_workgroup_id_x 1
		.amdhsa_system_sgpr_workgroup_id_y 0
		.amdhsa_system_sgpr_workgroup_id_z 0
		.amdhsa_system_sgpr_workgroup_info 0
		.amdhsa_system_vgpr_workitem_id 0
		.amdhsa_next_free_vgpr 64
		.amdhsa_next_free_sgpr 39
		.amdhsa_reserve_vcc 1
		.amdhsa_float_round_mode_32 0
		.amdhsa_float_round_mode_16_64 0
		.amdhsa_float_denorm_mode_32 3
		.amdhsa_float_denorm_mode_16_64 3
		.amdhsa_fp16_overflow 0
		.amdhsa_workgroup_processor_mode 1
		.amdhsa_memory_ordered 1
		.amdhsa_forward_progress 0
		.amdhsa_round_robin_scheduling 0
		.amdhsa_exception_fp_ieee_invalid_op 0
		.amdhsa_exception_fp_denorm_src 0
		.amdhsa_exception_fp_ieee_div_zero 0
		.amdhsa_exception_fp_ieee_overflow 0
		.amdhsa_exception_fp_ieee_underflow 0
		.amdhsa_exception_fp_ieee_inexact 0
		.amdhsa_exception_int_div_zero 0
	.end_amdhsa_kernel
	.text
.Lfunc_end0:
	.size	fft_rtc_back_len1664_factors_13_2_2_4_2_2_2_wgs_208_tpt_208_halfLds_half_op_CI_CI_unitstride_sbrr_dirReg, .Lfunc_end0-fft_rtc_back_len1664_factors_13_2_2_4_2_2_2_wgs_208_tpt_208_halfLds_half_op_CI_CI_unitstride_sbrr_dirReg
                                        ; -- End function
	.section	.AMDGPU.csdata,"",@progbits
; Kernel info:
; codeLenInByte = 8928
; NumSgprs: 41
; NumVgprs: 64
; ScratchSize: 0
; MemoryBound: 0
; FloatMode: 240
; IeeeMode: 1
; LDSByteSize: 0 bytes/workgroup (compile time only)
; SGPRBlocks: 5
; VGPRBlocks: 7
; NumSGPRsForWavesPerEU: 41
; NumVGPRsForWavesPerEU: 64
; Occupancy: 16
; WaveLimiterHint : 1
; COMPUTE_PGM_RSRC2:SCRATCH_EN: 0
; COMPUTE_PGM_RSRC2:USER_SGPR: 2
; COMPUTE_PGM_RSRC2:TRAP_HANDLER: 0
; COMPUTE_PGM_RSRC2:TGID_X_EN: 1
; COMPUTE_PGM_RSRC2:TGID_Y_EN: 0
; COMPUTE_PGM_RSRC2:TGID_Z_EN: 0
; COMPUTE_PGM_RSRC2:TIDIG_COMP_CNT: 0
	.text
	.p2alignl 7, 3214868480
	.fill 96, 4, 3214868480
	.type	__hip_cuid_c587cb01d3e1ea1d,@object ; @__hip_cuid_c587cb01d3e1ea1d
	.section	.bss,"aw",@nobits
	.globl	__hip_cuid_c587cb01d3e1ea1d
__hip_cuid_c587cb01d3e1ea1d:
	.byte	0                               ; 0x0
	.size	__hip_cuid_c587cb01d3e1ea1d, 1

	.ident	"AMD clang version 19.0.0git (https://github.com/RadeonOpenCompute/llvm-project roc-6.4.0 25133 c7fe45cf4b819c5991fe208aaa96edf142730f1d)"
	.section	".note.GNU-stack","",@progbits
	.addrsig
	.addrsig_sym __hip_cuid_c587cb01d3e1ea1d
	.amdgpu_metadata
---
amdhsa.kernels:
  - .args:
      - .actual_access:  read_only
        .address_space:  global
        .offset:         0
        .size:           8
        .value_kind:     global_buffer
      - .offset:         8
        .size:           8
        .value_kind:     by_value
      - .actual_access:  read_only
        .address_space:  global
        .offset:         16
        .size:           8
        .value_kind:     global_buffer
      - .actual_access:  read_only
        .address_space:  global
        .offset:         24
        .size:           8
        .value_kind:     global_buffer
      - .actual_access:  read_only
        .address_space:  global
        .offset:         32
        .size:           8
        .value_kind:     global_buffer
      - .offset:         40
        .size:           8
        .value_kind:     by_value
      - .actual_access:  read_only
        .address_space:  global
        .offset:         48
        .size:           8
        .value_kind:     global_buffer
      - .actual_access:  read_only
        .address_space:  global
        .offset:         56
        .size:           8
        .value_kind:     global_buffer
      - .offset:         64
        .size:           4
        .value_kind:     by_value
      - .actual_access:  read_only
        .address_space:  global
        .offset:         72
        .size:           8
        .value_kind:     global_buffer
      - .actual_access:  read_only
        .address_space:  global
        .offset:         80
        .size:           8
        .value_kind:     global_buffer
      - .actual_access:  read_only
        .address_space:  global
        .offset:         88
        .size:           8
        .value_kind:     global_buffer
      - .actual_access:  write_only
        .address_space:  global
        .offset:         96
        .size:           8
        .value_kind:     global_buffer
    .group_segment_fixed_size: 0
    .kernarg_segment_align: 8
    .kernarg_segment_size: 104
    .language:       OpenCL C
    .language_version:
      - 2
      - 0
    .max_flat_workgroup_size: 208
    .name:           fft_rtc_back_len1664_factors_13_2_2_4_2_2_2_wgs_208_tpt_208_halfLds_half_op_CI_CI_unitstride_sbrr_dirReg
    .private_segment_fixed_size: 0
    .sgpr_count:     41
    .sgpr_spill_count: 0
    .symbol:         fft_rtc_back_len1664_factors_13_2_2_4_2_2_2_wgs_208_tpt_208_halfLds_half_op_CI_CI_unitstride_sbrr_dirReg.kd
    .uniform_work_group_size: 1
    .uses_dynamic_stack: false
    .vgpr_count:     64
    .vgpr_spill_count: 0
    .wavefront_size: 32
    .workgroup_processor_mode: 1
amdhsa.target:   amdgcn-amd-amdhsa--gfx1201
amdhsa.version:
  - 1
  - 2
...

	.end_amdgpu_metadata
